;; amdgpu-corpus repo=ROCm/rocFFT kind=compiled arch=gfx906 opt=O3
	.text
	.amdgcn_target "amdgcn-amd-amdhsa--gfx906"
	.amdhsa_code_object_version 6
	.protected	fft_rtc_back_len98_factors_2_7_7_wgs_252_tpt_14_sp_op_CI_CI_sbrr_dirReg ; -- Begin function fft_rtc_back_len98_factors_2_7_7_wgs_252_tpt_14_sp_op_CI_CI_sbrr_dirReg
	.globl	fft_rtc_back_len98_factors_2_7_7_wgs_252_tpt_14_sp_op_CI_CI_sbrr_dirReg
	.p2align	8
	.type	fft_rtc_back_len98_factors_2_7_7_wgs_252_tpt_14_sp_op_CI_CI_sbrr_dirReg,@function
fft_rtc_back_len98_factors_2_7_7_wgs_252_tpt_14_sp_op_CI_CI_sbrr_dirReg: ; @fft_rtc_back_len98_factors_2_7_7_wgs_252_tpt_14_sp_op_CI_CI_sbrr_dirReg
; %bb.0:
	s_load_dwordx4 s[16:19], s[4:5], 0x18
	s_load_dwordx4 s[12:15], s[4:5], 0x0
	;; [unrolled: 1-line block ×3, first 2 shown]
	v_mul_u32_u24_e32 v1, 0x124a, v0
	v_lshrrev_b32_e32 v1, 16, v1
	v_mad_u64_u32 v[5:6], s[0:1], s6, 18, v[1:2]
	s_waitcnt lgkmcnt(0)
	s_load_dwordx2 s[20:21], s[16:17], 0x0
	s_load_dwordx2 s[2:3], s[18:19], 0x0
	v_mov_b32_e32 v9, 0
	v_cmp_lt_u64_e64 s[0:1], s[14:15], 2
	v_mov_b32_e32 v7, 0
	v_mov_b32_e32 v6, v9
	;; [unrolled: 1-line block ×5, first 2 shown]
	s_and_b64 vcc, exec, s[0:1]
	v_mov_b32_e32 v2, v8
	v_mov_b32_e32 v4, v6
	s_cbranch_vccnz .LBB0_8
; %bb.1:
	s_load_dwordx2 s[0:1], s[4:5], 0x10
	s_add_u32 s6, s18, 8
	s_addc_u32 s7, s19, 0
	s_add_u32 s22, s16, 8
	s_addc_u32 s23, s17, 0
	v_mov_b32_e32 v7, 0
	s_waitcnt lgkmcnt(0)
	s_add_u32 s24, s0, 8
	v_mov_b32_e32 v8, 0
	v_mov_b32_e32 v1, v7
	;; [unrolled: 1-line block ×3, first 2 shown]
	s_addc_u32 s25, s1, 0
	s_mov_b64 s[26:27], 1
	v_mov_b32_e32 v2, v8
	v_mov_b32_e32 v11, v5
.LBB0_2:                                ; =>This Inner Loop Header: Depth=1
	s_load_dwordx2 s[28:29], s[24:25], 0x0
                                        ; implicit-def: $vgpr3_vgpr4
	s_waitcnt lgkmcnt(0)
	v_or_b32_e32 v10, s29, v12
	v_cmp_ne_u64_e32 vcc, 0, v[9:10]
	s_and_saveexec_b64 s[0:1], vcc
	s_xor_b64 s[30:31], exec, s[0:1]
	s_cbranch_execz .LBB0_4
; %bb.3:                                ;   in Loop: Header=BB0_2 Depth=1
	v_cvt_f32_u32_e32 v3, s28
	v_cvt_f32_u32_e32 v4, s29
	s_sub_u32 s0, 0, s28
	s_subb_u32 s1, 0, s29
	v_mac_f32_e32 v3, 0x4f800000, v4
	v_rcp_f32_e32 v3, v3
	v_mul_f32_e32 v3, 0x5f7ffffc, v3
	v_mul_f32_e32 v4, 0x2f800000, v3
	v_trunc_f32_e32 v4, v4
	v_mac_f32_e32 v3, 0xcf800000, v4
	v_cvt_u32_f32_e32 v4, v4
	v_cvt_u32_f32_e32 v3, v3
	v_mul_lo_u32 v6, s0, v4
	v_mul_hi_u32 v10, s0, v3
	v_mul_lo_u32 v14, s1, v3
	v_mul_lo_u32 v13, s0, v3
	v_add_u32_e32 v6, v10, v6
	v_add_u32_e32 v6, v6, v14
	v_mul_hi_u32 v10, v3, v13
	v_mul_lo_u32 v14, v3, v6
	v_mul_hi_u32 v16, v3, v6
	v_mul_hi_u32 v15, v4, v13
	v_mul_lo_u32 v13, v4, v13
	v_mul_hi_u32 v17, v4, v6
	v_add_co_u32_e32 v10, vcc, v10, v14
	v_addc_co_u32_e32 v14, vcc, 0, v16, vcc
	v_mul_lo_u32 v6, v4, v6
	v_add_co_u32_e32 v10, vcc, v10, v13
	v_addc_co_u32_e32 v10, vcc, v14, v15, vcc
	v_addc_co_u32_e32 v13, vcc, 0, v17, vcc
	v_add_co_u32_e32 v6, vcc, v10, v6
	v_addc_co_u32_e32 v10, vcc, 0, v13, vcc
	v_add_co_u32_e32 v3, vcc, v3, v6
	v_addc_co_u32_e32 v4, vcc, v4, v10, vcc
	v_mul_lo_u32 v6, s0, v4
	v_mul_hi_u32 v10, s0, v3
	v_mul_lo_u32 v13, s1, v3
	v_mul_lo_u32 v14, s0, v3
	v_add_u32_e32 v6, v10, v6
	v_add_u32_e32 v6, v6, v13
	v_mul_lo_u32 v15, v3, v6
	v_mul_hi_u32 v16, v3, v14
	v_mul_hi_u32 v17, v3, v6
	;; [unrolled: 1-line block ×3, first 2 shown]
	v_mul_lo_u32 v14, v4, v14
	v_mul_hi_u32 v10, v4, v6
	v_add_co_u32_e32 v15, vcc, v16, v15
	v_addc_co_u32_e32 v16, vcc, 0, v17, vcc
	v_mul_lo_u32 v6, v4, v6
	v_add_co_u32_e32 v14, vcc, v15, v14
	v_addc_co_u32_e32 v13, vcc, v16, v13, vcc
	v_addc_co_u32_e32 v10, vcc, 0, v10, vcc
	v_add_co_u32_e32 v6, vcc, v13, v6
	v_addc_co_u32_e32 v10, vcc, 0, v10, vcc
	v_add_co_u32_e32 v6, vcc, v3, v6
	v_addc_co_u32_e32 v10, vcc, v4, v10, vcc
	v_mad_u64_u32 v[3:4], s[0:1], v11, v10, 0
	v_mul_hi_u32 v13, v11, v6
	v_add_co_u32_e32 v15, vcc, v13, v3
	v_addc_co_u32_e32 v16, vcc, 0, v4, vcc
	v_mad_u64_u32 v[3:4], s[0:1], v12, v6, 0
	v_mad_u64_u32 v[13:14], s[0:1], v12, v10, 0
	v_add_co_u32_e32 v3, vcc, v15, v3
	v_addc_co_u32_e32 v3, vcc, v16, v4, vcc
	v_addc_co_u32_e32 v4, vcc, 0, v14, vcc
	v_add_co_u32_e32 v6, vcc, v3, v13
	v_addc_co_u32_e32 v10, vcc, 0, v4, vcc
	v_mul_lo_u32 v13, s29, v6
	v_mul_lo_u32 v14, s28, v10
	v_mad_u64_u32 v[3:4], s[0:1], s28, v6, 0
	v_add3_u32 v4, v4, v14, v13
	v_sub_u32_e32 v13, v12, v4
	v_mov_b32_e32 v14, s29
	v_sub_co_u32_e32 v3, vcc, v11, v3
	v_subb_co_u32_e64 v13, s[0:1], v13, v14, vcc
	v_subrev_co_u32_e64 v14, s[0:1], s28, v3
	v_subbrev_co_u32_e64 v13, s[0:1], 0, v13, s[0:1]
	v_cmp_le_u32_e64 s[0:1], s29, v13
	v_cndmask_b32_e64 v15, 0, -1, s[0:1]
	v_cmp_le_u32_e64 s[0:1], s28, v14
	v_cndmask_b32_e64 v14, 0, -1, s[0:1]
	v_cmp_eq_u32_e64 s[0:1], s29, v13
	v_cndmask_b32_e64 v13, v15, v14, s[0:1]
	v_add_co_u32_e64 v14, s[0:1], 2, v6
	v_addc_co_u32_e64 v15, s[0:1], 0, v10, s[0:1]
	v_add_co_u32_e64 v16, s[0:1], 1, v6
	v_addc_co_u32_e64 v17, s[0:1], 0, v10, s[0:1]
	v_subb_co_u32_e32 v4, vcc, v12, v4, vcc
	v_cmp_ne_u32_e64 s[0:1], 0, v13
	v_cmp_le_u32_e32 vcc, s29, v4
	v_cndmask_b32_e64 v13, v17, v15, s[0:1]
	v_cndmask_b32_e64 v15, 0, -1, vcc
	v_cmp_le_u32_e32 vcc, s28, v3
	v_cndmask_b32_e64 v3, 0, -1, vcc
	v_cmp_eq_u32_e32 vcc, s29, v4
	v_cndmask_b32_e32 v3, v15, v3, vcc
	v_cmp_ne_u32_e32 vcc, 0, v3
	v_cndmask_b32_e64 v3, v16, v14, s[0:1]
	v_cndmask_b32_e32 v4, v10, v13, vcc
	v_cndmask_b32_e32 v3, v6, v3, vcc
.LBB0_4:                                ;   in Loop: Header=BB0_2 Depth=1
	s_andn2_saveexec_b64 s[0:1], s[30:31]
	s_cbranch_execz .LBB0_6
; %bb.5:                                ;   in Loop: Header=BB0_2 Depth=1
	v_cvt_f32_u32_e32 v3, s28
	s_sub_i32 s30, 0, s28
	v_rcp_iflag_f32_e32 v3, v3
	v_mul_f32_e32 v3, 0x4f7ffffe, v3
	v_cvt_u32_f32_e32 v3, v3
	v_mul_lo_u32 v4, s30, v3
	v_mul_hi_u32 v4, v3, v4
	v_add_u32_e32 v3, v3, v4
	v_mul_hi_u32 v3, v11, v3
	v_mul_lo_u32 v4, v3, s28
	v_add_u32_e32 v6, 1, v3
	v_sub_u32_e32 v4, v11, v4
	v_subrev_u32_e32 v10, s28, v4
	v_cmp_le_u32_e32 vcc, s28, v4
	v_cndmask_b32_e32 v4, v4, v10, vcc
	v_cndmask_b32_e32 v3, v3, v6, vcc
	v_add_u32_e32 v6, 1, v3
	v_cmp_le_u32_e32 vcc, s28, v4
	v_cndmask_b32_e32 v3, v3, v6, vcc
	v_mov_b32_e32 v4, v9
.LBB0_6:                                ;   in Loop: Header=BB0_2 Depth=1
	s_or_b64 exec, exec, s[0:1]
	v_mul_lo_u32 v6, v4, s28
	v_mul_lo_u32 v10, v3, s29
	v_mad_u64_u32 v[13:14], s[0:1], v3, s28, 0
	s_load_dwordx2 s[0:1], s[22:23], 0x0
	s_load_dwordx2 s[28:29], s[6:7], 0x0
	v_add3_u32 v6, v14, v10, v6
	v_sub_co_u32_e32 v10, vcc, v11, v13
	v_subb_co_u32_e32 v6, vcc, v12, v6, vcc
	s_waitcnt lgkmcnt(0)
	v_mul_lo_u32 v11, s0, v6
	v_mul_lo_u32 v12, s1, v10
	v_mad_u64_u32 v[7:8], s[0:1], s0, v10, v[7:8]
	s_add_u32 s26, s26, 1
	s_addc_u32 s27, s27, 0
	s_add_u32 s6, s6, 8
	v_mul_lo_u32 v6, s28, v6
	v_mul_lo_u32 v13, s29, v10
	v_mad_u64_u32 v[1:2], s[0:1], s28, v10, v[1:2]
	v_add3_u32 v8, v12, v8, v11
	s_addc_u32 s7, s7, 0
	v_mov_b32_e32 v10, s14
	s_add_u32 s22, s22, 8
	v_mov_b32_e32 v11, s15
	s_addc_u32 s23, s23, 0
	v_cmp_ge_u64_e32 vcc, s[26:27], v[10:11]
	s_add_u32 s24, s24, 8
	v_add3_u32 v2, v13, v2, v6
	s_addc_u32 s25, s25, 0
	s_cbranch_vccnz .LBB0_8
; %bb.7:                                ;   in Loop: Header=BB0_2 Depth=1
	v_mov_b32_e32 v12, v4
	v_mov_b32_e32 v11, v3
	s_branch .LBB0_2
.LBB0_8:
	s_load_dwordx2 s[0:1], s[4:5], 0x28
	s_lshl_b64 s[14:15], s[14:15], 3
	s_add_u32 s4, s18, s14
	s_addc_u32 s5, s19, s15
                                        ; implicit-def: $sgpr19
                                        ; implicit-def: $sgpr18
                                        ; implicit-def: $vgpr25
                                        ; implicit-def: $vgpr26
                                        ; implicit-def: $vgpr27
	s_waitcnt lgkmcnt(0)
	v_cmp_gt_u64_e32 vcc, s[0:1], v[3:4]
	v_cmp_le_u64_e64 s[0:1], s[0:1], v[3:4]
	s_and_saveexec_b64 s[6:7], s[0:1]
	s_xor_b64 s[0:1], exec, s[6:7]
; %bb.9:
	s_mov_b32 s6, 0x12492493
	v_mul_hi_u32 v6, v0, s6
	s_mov_b32 s18, 0
	s_mov_b32 s19, 0
                                        ; implicit-def: $vgpr7_vgpr8
	v_mul_u32_u24_e32 v6, 14, v6
	v_sub_u32_e32 v25, v0, v6
	v_add_u32_e32 v26, 14, v25
	v_add_u32_e32 v27, 28, v25
                                        ; implicit-def: $vgpr0
; %bb.10:
	s_or_saveexec_b64 s[6:7], s[0:1]
	s_load_dwordx2 s[4:5], s[4:5], 0x0
	v_mov_b32_e32 v10, s18
	v_mov_b32_e32 v6, s19
	v_mov_b32_e32 v9, s18
                                        ; implicit-def: $vgpr12
                                        ; implicit-def: $vgpr18
                                        ; implicit-def: $vgpr14
                                        ; implicit-def: $vgpr16
                                        ; implicit-def: $vgpr24
                                        ; implicit-def: $vgpr20
                                        ; implicit-def: $vgpr22
	s_xor_b64 exec, exec, s[6:7]
	s_cbranch_execz .LBB0_14
; %bb.11:
	s_add_u32 s0, s16, s14
	s_mov_b32 s14, 0x12492493
	v_mul_hi_u32 v6, v0, s14
	s_addc_u32 s1, s17, s15
	s_load_dwordx2 s[0:1], s[0:1], 0x0
	v_mul_u32_u24_e32 v6, 14, v6
	v_sub_u32_e32 v25, v0, v6
	v_mad_u64_u32 v[9:10], s[14:15], s20, v25, 0
	s_waitcnt lgkmcnt(0)
	v_mul_lo_u32 v6, s1, v3
	v_mul_lo_u32 v15, s0, v4
	v_mad_u64_u32 v[11:12], s[0:1], s0, v3, 0
	v_mov_b32_e32 v0, v10
	v_mad_u64_u32 v[13:14], s[0:1], s21, v25, v[0:1]
	v_add3_u32 v12, v12, v15, v6
	v_lshlrev_b64 v[11:12], 3, v[11:12]
	v_mov_b32_e32 v10, v13
	v_mov_b32_e32 v0, s9
	v_add_co_u32_e64 v13, s[0:1], s8, v11
	v_add_u32_e32 v15, 49, v25
	v_addc_co_u32_e64 v14, s[0:1], v0, v12, s[0:1]
	v_mad_u64_u32 v[11:12], s[0:1], s20, v15, 0
	v_lshlrev_b64 v[6:7], 3, v[7:8]
	v_add_u32_e32 v26, 14, v25
	v_add_co_u32_e64 v0, s[0:1], v13, v6
	v_addc_co_u32_e64 v6, s[0:1], v14, v7, s[0:1]
	v_lshlrev_b64 v[7:8], 3, v[9:10]
	v_mov_b32_e32 v9, v12
	v_mad_u64_u32 v[9:10], s[0:1], s21, v15, v[9:10]
	v_mad_u64_u32 v[13:14], s[0:1], s20, v26, 0
	v_mov_b32_e32 v12, v9
	v_add_co_u32_e64 v7, s[0:1], v0, v7
	v_lshlrev_b64 v[9:10], 3, v[11:12]
	v_mov_b32_e32 v11, v14
	v_addc_co_u32_e64 v8, s[0:1], v6, v8, s[0:1]
	v_mad_u64_u32 v[11:12], s[0:1], s21, v26, v[11:12]
	v_add_u32_e32 v17, 63, v25
	v_mad_u64_u32 v[15:16], s[0:1], s20, v17, 0
	v_mov_b32_e32 v14, v11
	v_add_co_u32_e64 v9, s[0:1], v0, v9
	v_lshlrev_b64 v[11:12], 3, v[13:14]
	v_mov_b32_e32 v13, v16
	v_add_u32_e32 v27, 28, v25
	v_addc_co_u32_e64 v10, s[0:1], v6, v10, s[0:1]
	v_mad_u64_u32 v[13:14], s[0:1], s21, v17, v[13:14]
	v_mad_u64_u32 v[17:18], s[0:1], s20, v27, 0
	v_add_co_u32_e64 v23, s[0:1], v0, v11
	v_mov_b32_e32 v16, v13
	v_mov_b32_e32 v13, v18
	v_addc_co_u32_e64 v24, s[0:1], v6, v12, s[0:1]
	v_lshlrev_b64 v[11:12], 3, v[15:16]
	v_mad_u64_u32 v[13:14], s[0:1], s21, v27, v[13:14]
	v_add_u32_e32 v16, 0x4d, v25
	v_mad_u64_u32 v[14:15], s[0:1], s20, v16, 0
	v_add_co_u32_e64 v28, s[0:1], v0, v11
	v_mov_b32_e32 v18, v13
	v_mov_b32_e32 v13, v15
	v_addc_co_u32_e64 v29, s[0:1], v6, v12, s[0:1]
	v_mad_u64_u32 v[15:16], s[0:1], s21, v16, v[13:14]
	v_lshlrev_b64 v[11:12], 3, v[17:18]
	v_add_co_u32_e64 v30, s[0:1], v0, v11
	v_addc_co_u32_e64 v31, s[0:1], v6, v12, s[0:1]
	v_lshlrev_b64 v[11:12], 3, v[14:15]
	v_add_co_u32_e64 v32, s[0:1], v0, v11
	v_addc_co_u32_e64 v33, s[0:1], v6, v12, s[0:1]
	global_load_dwordx2 v[11:12], v[7:8], off
	global_load_dwordx2 v[17:18], v[9:10], off
	;; [unrolled: 1-line block ×6, first 2 shown]
	v_cmp_gt_u32_e64 s[0:1], 7, v25
	v_mov_b32_e32 v9, 0
	v_mov_b32_e32 v10, 0
                                        ; implicit-def: $vgpr23
	s_and_saveexec_b64 s[8:9], s[0:1]
	s_cbranch_execz .LBB0_13
; %bb.12:
	v_add_u32_e32 v23, 42, v25
	v_add_u32_e32 v28, 0x5b, v25
	v_mad_u64_u32 v[7:8], s[0:1], s20, v23, 0
	v_mad_u64_u32 v[9:10], s[0:1], s20, v28, 0
	;; [unrolled: 1-line block ×3, first 2 shown]
	v_mov_b32_e32 v8, v23
	s_waitcnt vmcnt(5)
	v_mad_u64_u32 v[23:24], s[0:1], s21, v28, v[10:11]
	v_lshlrev_b64 v[7:8], 3, v[7:8]
	v_mov_b32_e32 v10, v23
	v_add_co_u32_e64 v7, s[0:1], v0, v7
	v_lshlrev_b64 v[9:10], 3, v[9:10]
	v_addc_co_u32_e64 v8, s[0:1], v6, v8, s[0:1]
	v_add_co_u32_e64 v28, s[0:1], v0, v9
	v_addc_co_u32_e64 v29, s[0:1], v6, v10, s[0:1]
	global_load_dwordx2 v[9:10], v[7:8], off
	global_load_dwordx2 v[23:24], v[28:29], off
.LBB0_13:
	s_or_b64 exec, exec, s[8:9]
	v_mov_b32_e32 v6, v25
.LBB0_14:
	s_or_b64 exec, exec, s[6:7]
	s_mov_b32 s0, 0x38e38e39
	v_mul_hi_u32 v0, v5, s0
	s_waitcnt vmcnt(4)
	v_sub_f32_e32 v17, v11, v17
	v_sub_f32_e32 v18, v12, v18
	v_fma_f32 v11, v11, 2.0, -v17
	v_lshrrev_b32_e32 v0, 2, v0
	v_mul_lo_u32 v0, v0, 18
	v_fma_f32 v12, v12, 2.0, -v18
	s_waitcnt vmcnt(2)
	v_sub_f32_e32 v21, v13, v21
	v_sub_f32_e32 v22, v14, v22
	v_sub_u32_e32 v0, v5, v0
	v_mul_u32_u24_e32 v5, 0x62, v0
	v_lshl_add_u32 v0, v25, 4, 0
	v_lshlrev_b32_e32 v8, 3, v5
	v_add_u32_e32 v5, v0, v8
	ds_write2_b64 v5, v[11:12], v[17:18] offset1:1
	v_lshl_add_u32 v5, v26, 4, 0
	v_fma_f32 v13, v13, 2.0, -v21
	v_fma_f32 v14, v14, 2.0, -v22
	v_add_u32_e32 v7, v5, v8
	s_waitcnt vmcnt(0)
	v_sub_f32_e32 v19, v15, v19
	v_sub_f32_e32 v20, v16, v20
	ds_write2_b64 v7, v[13:14], v[21:22] offset1:1
	v_lshl_add_u32 v7, v27, 4, 0
	v_fma_f32 v15, v15, 2.0, -v19
	v_fma_f32 v16, v16, 2.0, -v20
	v_add_u32_e32 v11, v7, v8
	v_cmp_gt_u32_e64 s[0:1], 7, v25
	ds_write2_b64 v11, v[15:16], v[19:20] offset1:1
	s_and_saveexec_b64 s[6:7], s[0:1]
	s_cbranch_execz .LBB0_16
; %bb.15:
	v_sub_f32_e32 v11, v10, v24
	v_lshlrev_b32_e32 v14, 4, v25
	v_fma_f32 v13, v10, 2.0, -v11
	v_sub_f32_e32 v10, v9, v23
	v_fma_f32 v12, v9, 2.0, -v10
	v_add3_u32 v9, v14, 0, v8
	ds_write2_b64 v9, v[12:13], v[10:11] offset0:84 offset1:85
.LBB0_16:
	s_or_b64 exec, exec, s[6:7]
	v_and_b32_e32 v36, 1, v25
	v_mul_u32_u24_e32 v9, 6, v36
	v_lshlrev_b32_e32 v21, 3, v9
	s_waitcnt lgkmcnt(0)
	s_barrier
	global_load_dwordx4 v[9:12], v21, s[12:13] offset:16
	global_load_dwordx4 v[13:16], v21, s[12:13] offset:32
	global_load_dwordx4 v[17:20], v21, s[12:13]
	v_lshlrev_b32_e32 v21, 3, v25
	v_lshlrev_b32_e32 v22, 3, v26
	;; [unrolled: 1-line block ×3, first 2 shown]
	v_sub_u32_e32 v24, v0, v21
	v_add_u32_e32 v37, 0, v8
	v_sub_u32_e32 v5, v5, v22
	v_sub_u32_e32 v22, v7, v23
	v_add_u32_e32 v7, v24, v8
	v_add_u32_e32 v0, v37, v21
	;; [unrolled: 1-line block ×4, first 2 shown]
	ds_read2_b64 v[21:24], v7 offset0:42 offset1:56
	ds_read2_b64 v[26:29], v7 offset0:70 offset1:84
	ds_read_b64 v[30:31], v8
	ds_read_b64 v[32:33], v5
	;; [unrolled: 1-line block ×3, first 2 shown]
	s_mov_b32 s1, 0x3f3bfb3b
	s_mov_b32 s6, 0xbf3bfb3b
	;; [unrolled: 1-line block ×4, first 2 shown]
	s_waitcnt vmcnt(0) lgkmcnt(0)
	s_barrier
	v_mul_f32_e32 v38, v10, v22
	v_mul_f32_e32 v10, v10, v21
	;; [unrolled: 1-line block ×11, first 2 shown]
	v_fmac_f32_e32 v38, v9, v21
	v_fma_f32 v9, v9, v22, -v10
	v_fmac_f32_e32 v39, v11, v23
	v_fma_f32 v10, v11, v24, -v12
	v_mul_f32_e32 v11, v20, v30
	v_fmac_f32_e32 v40, v13, v26
	v_fma_f32 v12, v13, v27, -v14
	v_fmac_f32_e32 v41, v15, v28
	v_fma_f32 v13, v15, v29, -v16
	;; [unrolled: 2-line block ×4, first 2 shown]
	v_add_f32_e32 v15, v42, v41
	v_add_f32_e32 v16, v14, v13
	v_sub_f32_e32 v13, v14, v13
	v_add_f32_e32 v14, v43, v40
	v_add_f32_e32 v18, v11, v12
	v_sub_f32_e32 v11, v11, v12
	;; [unrolled: 3-line block ×3, first 2 shown]
	v_add_f32_e32 v10, v14, v15
	v_sub_f32_e32 v19, v43, v40
	v_sub_f32_e32 v21, v39, v38
	v_add_f32_e32 v22, v18, v16
	v_sub_f32_e32 v23, v14, v15
	v_sub_f32_e32 v15, v15, v12
	v_sub_f32_e32 v14, v12, v14
	v_add_f32_e32 v12, v12, v10
	v_sub_f32_e32 v24, v18, v16
	;; [unrolled: 4-line block ×3, first 2 shown]
	v_sub_f32_e32 v29, v9, v11
	v_sub_f32_e32 v30, v13, v9
	v_add_f32_e32 v20, v20, v22
	v_add_f32_e32 v9, v12, v34
	v_sub_f32_e32 v17, v42, v41
	v_sub_f32_e32 v11, v11, v13
	v_add_f32_e32 v13, v27, v13
	v_mul_f32_e32 v27, 0x3f08b237, v28
	v_mul_f32_e32 v28, 0x3f08b237, v29
	v_add_f32_e32 v10, v20, v35
	v_mov_b32_e32 v29, v9
	v_add_f32_e32 v26, v21, v19
	v_sub_f32_e32 v19, v19, v17
	v_mul_f32_e32 v15, 0x3f4a47b2, v15
	v_mul_f32_e32 v22, 0x3d64c772, v14
	v_fmac_f32_e32 v29, 0xbf955555, v12
	v_mov_b32_e32 v12, v10
	v_sub_f32_e32 v21, v17, v21
	v_add_f32_e32 v17, v26, v17
	v_mul_f32_e32 v16, 0x3f4a47b2, v16
	v_mul_f32_e32 v26, 0x3d64c772, v18
	v_fmac_f32_e32 v12, 0xbf955555, v20
	v_mul_f32_e32 v20, 0xbf5ff5aa, v19
	v_fma_f32 v22, v23, s1, -v22
	v_fma_f32 v23, v23, s6, -v15
	v_fmac_f32_e32 v15, 0x3d64c772, v14
	v_mul_f32_e32 v14, 0xbf5ff5aa, v11
	v_fma_f32 v26, v24, s1, -v26
	v_fma_f32 v24, v24, s6, -v16
	v_fmac_f32_e32 v16, 0x3d64c772, v18
	v_fma_f32 v18, v19, s0, -v27
	v_fmac_f32_e32 v27, 0xbeae86e6, v21
	v_fma_f32 v19, v11, s0, -v28
	v_fma_f32 v20, v21, s7, -v20
	;; [unrolled: 1-line block ×3, first 2 shown]
	v_fmac_f32_e32 v28, 0xbeae86e6, v30
	v_add_f32_e32 v22, v22, v29
	v_add_f32_e32 v23, v23, v29
	v_fmac_f32_e32 v19, 0xbee1c552, v13
	v_fmac_f32_e32 v21, 0xbee1c552, v13
	v_add_f32_e32 v30, v15, v29
	v_fmac_f32_e32 v27, 0xbee1c552, v17
	v_fmac_f32_e32 v28, 0xbee1c552, v13
	;; [unrolled: 1-line block ×4, first 2 shown]
	v_add_f32_e32 v13, v21, v23
	v_sub_f32_e32 v15, v22, v19
	v_add_f32_e32 v17, v19, v22
	v_sub_f32_e32 v19, v23, v21
	v_lshrrev_b32_e32 v23, 1, v25
	v_mul_u32_u24_e32 v23, 14, v23
	v_add_f32_e32 v31, v16, v12
	v_or_b32_e32 v23, v23, v36
	v_add_f32_e32 v26, v26, v12
	v_add_f32_e32 v24, v24, v12
	v_add_f32_e32 v11, v28, v30
	v_sub_f32_e32 v12, v31, v27
	v_lshl_add_u32 v23, v23, 3, v37
	v_sub_f32_e32 v14, v24, v20
	v_add_f32_e32 v16, v18, v26
	v_sub_f32_e32 v18, v26, v18
	v_add_f32_e32 v20, v20, v24
	;; [unrolled: 2-line block ×3, first 2 shown]
	ds_write2_b64 v23, v[9:10], v[11:12] offset1:2
	ds_write2_b64 v23, v[13:14], v[15:16] offset0:4 offset1:6
	ds_write2_b64 v23, v[17:18], v[19:20] offset0:8 offset1:10
	ds_write_b64 v23, v[21:22] offset:96
	s_waitcnt lgkmcnt(0)
	s_barrier
	s_and_saveexec_b64 s[8:9], vcc
	s_cbranch_execz .LBB0_18
; %bb.17:
	v_mul_u32_u24_e32 v9, 6, v25
	v_lshlrev_b32_e32 v21, 3, v9
	global_load_dwordx4 v[9:12], v21, s[12:13] offset:112
	global_load_dwordx4 v[13:16], v21, s[12:13] offset:96
	global_load_dwordx4 v[17:20], v21, s[12:13] offset:128
	ds_read2_b64 v[21:24], v7 offset0:42 offset1:56
	v_mul_lo_u32 v33, s5, v3
	v_mul_lo_u32 v34, s4, v4
	v_mad_u64_u32 v[3:4], s[4:5], s4, v3, 0
	ds_read2_b64 v[25:28], v7 offset0:70 offset1:84
	ds_read_b64 v[7:8], v8
	ds_read_b64 v[29:30], v5
	;; [unrolled: 1-line block ×3, first 2 shown]
	v_add3_u32 v4, v4, v34, v33
	v_lshlrev_b64 v[3:4], 3, v[3:4]
	v_add_co_u32_e32 v3, vcc, s10, v3
	s_waitcnt vmcnt(2) lgkmcnt(4)
	v_mul_f32_e32 v0, v12, v24
	v_mul_f32_e32 v5, v10, v22
	;; [unrolled: 1-line block ×4, first 2 shown]
	s_waitcnt vmcnt(1) lgkmcnt(1)
	v_mul_f32_e32 v33, v14, v30
	s_waitcnt vmcnt(0)
	v_mul_f32_e32 v34, v20, v28
	v_mul_f32_e32 v35, v18, v26
	;; [unrolled: 1-line block ×7, first 2 shown]
	v_fmac_f32_e32 v0, v11, v23
	v_fmac_f32_e32 v5, v9, v21
	v_fma_f32 v9, v9, v22, -v10
	v_fma_f32 v10, v11, v24, -v12
	v_fmac_f32_e32 v34, v19, v27
	v_fmac_f32_e32 v35, v17, v25
	v_fma_f32 v11, v19, v28, -v20
	v_fma_f32 v12, v17, v26, -v18
	;; [unrolled: 4-line block ×3, first 2 shown]
	v_sub_f32_e32 v14, v0, v5
	v_add_f32_e32 v16, v7, v11
	v_add_f32_e32 v18, v8, v12
	;; [unrolled: 1-line block ×5, first 2 shown]
	v_sub_f32_e32 v13, v33, v34
	v_sub_f32_e32 v15, v36, v35
	v_add_f32_e32 v17, v10, v9
	v_add_f32_e32 v21, v16, v18
	v_sub_f32_e32 v23, v0, v5
	v_add_f32_e32 v24, v19, v5
	v_sub_f32_e32 v11, v7, v11
	v_sub_f32_e32 v9, v10, v9
	;; [unrolled: 1-line block ×5, first 2 shown]
	v_add_f32_e32 v8, v14, v15
	v_sub_f32_e32 v12, v16, v17
	v_sub_f32_e32 v14, v17, v18
	;; [unrolled: 1-line block ×3, first 2 shown]
	v_add_f32_e32 v17, v17, v21
	v_mul_f32_e32 v23, 0x3d64c772, v23
	v_add_f32_e32 v0, v0, v24
	v_sub_f32_e32 v15, v15, v13
	v_mul_f32_e32 v27, 0x3f08b237, v7
	v_add_f32_e32 v13, v13, v8
	s_waitcnt lgkmcnt(0)
	v_add_f32_e32 v8, v17, v32
	v_add_f32_e32 v7, v0, v31
	v_mov_b32_e32 v31, v23
	v_mul_f32_e32 v21, 0x3f4a47b2, v22
	v_mov_b32_e32 v33, v8
	v_fmac_f32_e32 v31, 0x3f4a47b2, v22
	v_mov_b32_e32 v22, v7
	v_sub_f32_e32 v5, v5, v19
	v_sub_f32_e32 v26, v9, v20
	v_mul_f32_e32 v14, 0x3d64c772, v14
	v_fmac_f32_e32 v33, 0xbf955555, v17
	v_fmac_f32_e32 v22, 0xbf955555, v0
	v_fma_f32 v17, v5, s6, -v21
	v_mul_f32_e32 v28, 0x3f4a47b2, v12
	v_mul_f32_e32 v24, 0x3f08b237, v26
	v_mov_b32_e32 v30, v14
	v_add_f32_e32 v0, v9, v20
	v_sub_f32_e32 v16, v18, v16
	v_add_f32_e32 v19, v17, v22
	v_sub_f32_e32 v17, v20, v11
	v_sub_f32_e32 v25, v11, v9
	v_mul_f32_e32 v26, 0xbf5ff5aa, v15
	v_fmac_f32_e32 v30, 0x3f4a47b2, v12
	v_add_f32_e32 v0, v11, v0
	v_fma_f32 v12, v16, s6, -v28
	v_mul_f32_e32 v11, 0xbf5ff5aa, v17
	v_fma_f32 v14, v16, s1, -v14
	v_fma_f32 v20, v15, s0, -v27
	;; [unrolled: 1-line block ×4, first 2 shown]
	v_mad_u64_u32 v[15:16], s[0:1], s2, v6, 0
	v_mov_b32_e32 v32, v24
	v_fmac_f32_e32 v32, 0xbeae86e6, v25
	v_fma_f32 v25, v25, s7, -v11
	v_fmac_f32_e32 v32, 0xbee1c552, v0
	v_fmac_f32_e32 v25, 0xbee1c552, v0
	;; [unrolled: 1-line block ×3, first 2 shown]
	v_mov_b32_e32 v0, v16
	v_add_f32_e32 v31, v31, v22
	v_add_f32_e32 v5, v5, v22
	v_mad_u64_u32 v[21:22], s[0:1], s3, v6, v[0:1]
	v_mov_b32_e32 v0, s11
	v_addc_co_u32_e32 v4, vcc, v0, v4, vcc
	v_lshlrev_b64 v[0:1], 3, v[1:2]
	v_mov_b32_e32 v16, v21
	v_add_co_u32_e32 v21, vcc, v3, v0
	v_addc_co_u32_e32 v24, vcc, v4, v1, vcc
	v_add_u32_e32 v4, 14, v6
	v_mad_u64_u32 v[2:3], s[0:1], s2, v4, 0
	v_mov_b32_e32 v29, v27
	v_fma_f32 v26, v10, s7, -v26
	v_fmac_f32_e32 v29, 0xbeae86e6, v10
	v_lshlrev_b64 v[0:1], 3, v[15:16]
	v_mad_u64_u32 v[3:4], s[0:1], s3, v4, v[3:4]
	v_add_u32_e32 v15, 28, v6
	v_fmac_f32_e32 v29, 0xbee1c552, v13
	v_fmac_f32_e32 v26, 0xbee1c552, v13
	;; [unrolled: 1-line block ×3, first 2 shown]
	v_add_f32_e32 v13, v17, v5
	v_sub_f32_e32 v17, v5, v17
	v_mad_u64_u32 v[4:5], s[0:1], s2, v15, 0
	v_add_co_u32_e32 v0, vcc, v21, v0
	v_addc_co_u32_e32 v1, vcc, v24, v1, vcc
	global_store_dwordx2 v[0:1], v[7:8], off
	v_lshlrev_b64 v[0:1], 3, v[2:3]
	v_mov_b32_e32 v2, v5
	v_mad_u64_u32 v[2:3], s[0:1], s3, v15, v[2:3]
	v_add_f32_e32 v30, v30, v33
	v_add_co_u32_e32 v0, vcc, v21, v0
	v_sub_f32_e32 v23, v30, v29
	v_add_f32_e32 v22, v32, v31
	v_addc_co_u32_e32 v1, vcc, v24, v1, vcc
	v_mov_b32_e32 v5, v2
	global_store_dwordx2 v[0:1], v[22:23], off
	v_lshlrev_b64 v[0:1], 3, v[4:5]
	v_add_u32_e32 v4, 42, v6
	v_mad_u64_u32 v[2:3], s[0:1], s2, v4, 0
	v_add_u32_e32 v7, 56, v6
	v_add_f32_e32 v28, v12, v33
	v_mad_u64_u32 v[3:4], s[0:1], s3, v4, v[3:4]
	v_mad_u64_u32 v[4:5], s[0:1], s2, v7, 0
	v_add_f32_e32 v18, v14, v33
	v_add_co_u32_e32 v0, vcc, v21, v0
	v_sub_f32_e32 v11, v19, v25
	v_sub_f32_e32 v14, v18, v20
	v_add_f32_e32 v18, v20, v18
	v_sub_f32_e32 v20, v28, v26
	v_add_f32_e32 v19, v25, v19
	v_addc_co_u32_e32 v1, vcc, v24, v1, vcc
	global_store_dwordx2 v[0:1], v[19:20], off
	v_lshlrev_b64 v[0:1], 3, v[2:3]
	v_mov_b32_e32 v2, v5
	v_mad_u64_u32 v[2:3], s[0:1], s3, v7, v[2:3]
	v_add_co_u32_e32 v0, vcc, v21, v0
	v_addc_co_u32_e32 v1, vcc, v24, v1, vcc
	v_mov_b32_e32 v5, v2
	global_store_dwordx2 v[0:1], v[17:18], off
	v_lshlrev_b64 v[0:1], 3, v[4:5]
	v_add_u32_e32 v4, 0x46, v6
	v_mad_u64_u32 v[2:3], s[0:1], s2, v4, 0
	v_add_u32_e32 v6, 0x54, v6
	v_add_co_u32_e32 v0, vcc, v21, v0
	v_mad_u64_u32 v[3:4], s[0:1], s3, v4, v[3:4]
	v_mad_u64_u32 v[4:5], s[0:1], s2, v6, 0
	v_addc_co_u32_e32 v1, vcc, v24, v1, vcc
	global_store_dwordx2 v[0:1], v[13:14], off
	v_lshlrev_b64 v[0:1], 3, v[2:3]
	v_mov_b32_e32 v2, v5
	v_mad_u64_u32 v[2:3], s[0:1], s3, v6, v[2:3]
	v_add_co_u32_e32 v0, vcc, v21, v0
	v_add_f32_e32 v12, v26, v28
	v_addc_co_u32_e32 v1, vcc, v24, v1, vcc
	v_mov_b32_e32 v5, v2
	global_store_dwordx2 v[0:1], v[11:12], off
	v_lshlrev_b64 v[0:1], 3, v[4:5]
	v_add_f32_e32 v10, v29, v30
	v_add_co_u32_e32 v0, vcc, v21, v0
	v_sub_f32_e32 v9, v31, v32
	v_addc_co_u32_e32 v1, vcc, v24, v1, vcc
	global_store_dwordx2 v[0:1], v[9:10], off
.LBB0_18:
	s_endpgm
	.section	.rodata,"a",@progbits
	.p2align	6, 0x0
	.amdhsa_kernel fft_rtc_back_len98_factors_2_7_7_wgs_252_tpt_14_sp_op_CI_CI_sbrr_dirReg
		.amdhsa_group_segment_fixed_size 0
		.amdhsa_private_segment_fixed_size 0
		.amdhsa_kernarg_size 104
		.amdhsa_user_sgpr_count 6
		.amdhsa_user_sgpr_private_segment_buffer 1
		.amdhsa_user_sgpr_dispatch_ptr 0
		.amdhsa_user_sgpr_queue_ptr 0
		.amdhsa_user_sgpr_kernarg_segment_ptr 1
		.amdhsa_user_sgpr_dispatch_id 0
		.amdhsa_user_sgpr_flat_scratch_init 0
		.amdhsa_user_sgpr_private_segment_size 0
		.amdhsa_uses_dynamic_stack 0
		.amdhsa_system_sgpr_private_segment_wavefront_offset 0
		.amdhsa_system_sgpr_workgroup_id_x 1
		.amdhsa_system_sgpr_workgroup_id_y 0
		.amdhsa_system_sgpr_workgroup_id_z 0
		.amdhsa_system_sgpr_workgroup_info 0
		.amdhsa_system_vgpr_workitem_id 0
		.amdhsa_next_free_vgpr 44
		.amdhsa_next_free_sgpr 32
		.amdhsa_reserve_vcc 1
		.amdhsa_reserve_flat_scratch 0
		.amdhsa_float_round_mode_32 0
		.amdhsa_float_round_mode_16_64 0
		.amdhsa_float_denorm_mode_32 3
		.amdhsa_float_denorm_mode_16_64 3
		.amdhsa_dx10_clamp 1
		.amdhsa_ieee_mode 1
		.amdhsa_fp16_overflow 0
		.amdhsa_exception_fp_ieee_invalid_op 0
		.amdhsa_exception_fp_denorm_src 0
		.amdhsa_exception_fp_ieee_div_zero 0
		.amdhsa_exception_fp_ieee_overflow 0
		.amdhsa_exception_fp_ieee_underflow 0
		.amdhsa_exception_fp_ieee_inexact 0
		.amdhsa_exception_int_div_zero 0
	.end_amdhsa_kernel
	.text
.Lfunc_end0:
	.size	fft_rtc_back_len98_factors_2_7_7_wgs_252_tpt_14_sp_op_CI_CI_sbrr_dirReg, .Lfunc_end0-fft_rtc_back_len98_factors_2_7_7_wgs_252_tpt_14_sp_op_CI_CI_sbrr_dirReg
                                        ; -- End function
	.section	.AMDGPU.csdata,"",@progbits
; Kernel info:
; codeLenInByte = 3996
; NumSgprs: 36
; NumVgprs: 44
; ScratchSize: 0
; MemoryBound: 0
; FloatMode: 240
; IeeeMode: 1
; LDSByteSize: 0 bytes/workgroup (compile time only)
; SGPRBlocks: 4
; VGPRBlocks: 10
; NumSGPRsForWavesPerEU: 36
; NumVGPRsForWavesPerEU: 44
; Occupancy: 5
; WaveLimiterHint : 1
; COMPUTE_PGM_RSRC2:SCRATCH_EN: 0
; COMPUTE_PGM_RSRC2:USER_SGPR: 6
; COMPUTE_PGM_RSRC2:TRAP_HANDLER: 0
; COMPUTE_PGM_RSRC2:TGID_X_EN: 1
; COMPUTE_PGM_RSRC2:TGID_Y_EN: 0
; COMPUTE_PGM_RSRC2:TGID_Z_EN: 0
; COMPUTE_PGM_RSRC2:TIDIG_COMP_CNT: 0
	.type	__hip_cuid_b8b902a6c2d909cb,@object ; @__hip_cuid_b8b902a6c2d909cb
	.section	.bss,"aw",@nobits
	.globl	__hip_cuid_b8b902a6c2d909cb
__hip_cuid_b8b902a6c2d909cb:
	.byte	0                               ; 0x0
	.size	__hip_cuid_b8b902a6c2d909cb, 1

	.ident	"AMD clang version 19.0.0git (https://github.com/RadeonOpenCompute/llvm-project roc-6.4.0 25133 c7fe45cf4b819c5991fe208aaa96edf142730f1d)"
	.section	".note.GNU-stack","",@progbits
	.addrsig
	.addrsig_sym __hip_cuid_b8b902a6c2d909cb
	.amdgpu_metadata
---
amdhsa.kernels:
  - .args:
      - .actual_access:  read_only
        .address_space:  global
        .offset:         0
        .size:           8
        .value_kind:     global_buffer
      - .offset:         8
        .size:           8
        .value_kind:     by_value
      - .actual_access:  read_only
        .address_space:  global
        .offset:         16
        .size:           8
        .value_kind:     global_buffer
      - .actual_access:  read_only
        .address_space:  global
        .offset:         24
        .size:           8
        .value_kind:     global_buffer
      - .actual_access:  read_only
        .address_space:  global
        .offset:         32
        .size:           8
        .value_kind:     global_buffer
      - .offset:         40
        .size:           8
        .value_kind:     by_value
      - .actual_access:  read_only
        .address_space:  global
        .offset:         48
        .size:           8
        .value_kind:     global_buffer
      - .actual_access:  read_only
        .address_space:  global
        .offset:         56
        .size:           8
        .value_kind:     global_buffer
      - .offset:         64
        .size:           4
        .value_kind:     by_value
      - .actual_access:  read_only
        .address_space:  global
        .offset:         72
        .size:           8
        .value_kind:     global_buffer
      - .actual_access:  read_only
        .address_space:  global
        .offset:         80
        .size:           8
        .value_kind:     global_buffer
      - .actual_access:  read_only
        .address_space:  global
        .offset:         88
        .size:           8
        .value_kind:     global_buffer
      - .actual_access:  write_only
        .address_space:  global
        .offset:         96
        .size:           8
        .value_kind:     global_buffer
    .group_segment_fixed_size: 0
    .kernarg_segment_align: 8
    .kernarg_segment_size: 104
    .language:       OpenCL C
    .language_version:
      - 2
      - 0
    .max_flat_workgroup_size: 252
    .name:           fft_rtc_back_len98_factors_2_7_7_wgs_252_tpt_14_sp_op_CI_CI_sbrr_dirReg
    .private_segment_fixed_size: 0
    .sgpr_count:     36
    .sgpr_spill_count: 0
    .symbol:         fft_rtc_back_len98_factors_2_7_7_wgs_252_tpt_14_sp_op_CI_CI_sbrr_dirReg.kd
    .uniform_work_group_size: 1
    .uses_dynamic_stack: false
    .vgpr_count:     44
    .vgpr_spill_count: 0
    .wavefront_size: 64
amdhsa.target:   amdgcn-amd-amdhsa--gfx906
amdhsa.version:
  - 1
  - 2
...

	.end_amdgpu_metadata
